;; amdgpu-corpus repo=ROCm/aiter kind=harvested arch=n/a opt=n/a

/root/src/amdgpu-assembly/repos/ROCm__aiter/hsa/gfx950/fmha_v3_bwd/bwd_hd192_dq_convert_bf16_group.co:	file format elf64-amdgpu

Disassembly of section .text:

0000000000002100 <_ZN5aiter36fmha_bwd_hd192_dq_convert_bf16_groupE>:
	s_and_b32 s1, s1, 0xffff                                   // 000000002100: 8601FF01 0000FFFF
	s_load_dwordx2 s[12:13], s[0:1], 0x0                       // 000000002108: C0060300 00000000
	s_load_dwordx2 s[16:17], s[0:1], 0x10                      // 000000002110: C0060400 00000010
	s_load_dword s6, s[0:1], 0x20                              // 000000002118: C0020180 00000020
	s_load_dword s8, s[0:1], 0x40                              // 000000002120: C0020200 00000040
	s_load_dword s9, s[0:1], 0x50                              // 000000002128: C0020240 00000050
	s_load_dword s11, s[0:1], 0x70                             // 000000002130: C00202C0 00000070
	s_load_dword s34, s[0:1], 0x90                             // 000000002138: C0020880 00000090
	s_load_dwordx2 s[40:41], s[0:1], 0xa0                      // 000000002140: C0060A00 000000A0
	s_load_dwordx2 s[44:45], s[0:1], 0xb0                      // 000000002148: C0060B00 000000B0
	v_lshrrev_b32_e32 v1, 10, v0                               // 000000002150: 2002008A
	v_lshrrev_b32_e32 v2, 10, v1                               // 000000002154: 2004028A
	v_and_b32_e32 v2, 0x3ff, v2                                // 000000002158: 260404FF 000003FF
	v_and_b32_e32 v1, 0x3ff, v1                                // 000000002160: 260202FF 000003FF
	v_and_b32_e32 v0, 0x3ff, v0                                // 000000002168: 260000FF 000003FF
	v_lshrrev_b32_e32 v3, 6, v0                                // 000000002170: 20060086
	v_and_b32_e32 v0, 63, v0                                   // 000000002174: 260000BF
	s_mov_b32 s2, s2                                           // 000000002178: BE820002
	s_mov_b32 s3, s3                                           // 00000000217C: BE830003
	s_mov_b32 s4, s4                                           // 000000002180: BE840004
	v_readfirstlane_b32 s24, v3                                // 000000002184: 7E300503
	s_waitcnt lgkmcnt(0)                                       // 000000002188: BF8CC07F
	s_mul_i32 s25, s4, 4                                       // 00000000218C: 92198404
	s_add_u32 s40, s25, s40                                    // 000000002190: 80282819
	s_addc_u32 s41, 0, s41                                     // 000000002194: 82292980
	s_load_dwordx2 s[42:43], s[40:41], 0x0                     // 000000002198: C0060A94 00000000
	s_add_u32 s44, s25, s44                                    // 0000000021A0: 802C2C19
	s_addc_u32 s45, 0, s45                                     // 0000000021A4: 822D2D80
	s_load_dword s46, s[44:45], 0x0                            // 0000000021A8: C0020B96 00000000
	s_mov_b32 s15, 0x20000                                     // 0000000021B0: BE8F00FF 00020000
	s_mov_b32 s19, 0x20000                                     // 0000000021B8: BE9300FF 00020000
	s_and_b32 s13, s13, 0xffff                                 // 0000000021C0: 860DFF0D 0000FFFF
	s_and_b32 s17, s17, 0xffff                                 // 0000000021C8: 8611FF11 0000FFFF
	s_or_b32 s13, s13, 0x40000                                 // 0000000021D0: 870DFF0D 00040000
	s_or_b32 s17, s17, 0x40000                                 // 0000000021D8: 8711FF11 00040000
	v_mov_b32_e32 v29, 0                                       // 0000000021E0: 7E3A0280
	s_mov_b32 s20, s12                                         // 0000000021E4: BE94000C
	s_mov_b32 s21, s13                                         // 0000000021E8: BE95000D
	s_mov_b32 s22, s16                                         // 0000000021EC: BE960010
	s_mov_b32 s23, s17                                         // 0000000021F0: BE970011
	s_waitcnt lgkmcnt(0)                                       // 0000000021F4: BF8CC07F
	s_mul_i32 s25, s2, 64                                      // 0000000021F8: 9219C002
	s_sub_i32 s35, s43, s42                                    // 0000000021FC: 81A32A2B
	s_mov_b32 s42, s46                                         // 000000002200: BEAA002E
	s_cmp_ge_i32 s25, s35                                      // 000000002204: BF032319
	s_cbranch_scc1 label_01C7                                  // 000000002208: BF850184
	s_mul_i32 s25, s8, 64                                      // 00000000220C: 9219C008
	s_mul_i32 s25, s2, s25                                     // 000000002210: 92191902
	s_mul_i32 s26, s3, s6                                      // 000000002214: 921A0603
	s_mul_hi_u32 s29, s3, s6                                   // 000000002218: 961D0603
	s_add_u32 s28, s25, s26                                    // 00000000221C: 801C1A19
	s_addc_u32 s29, s29, 0                                     // 000000002220: 821D801D
	s_mul_i32 s26, s42, s8                                     // 000000002224: 921A082A
	s_mul_hi_u32 s27, s42, s8                                  // 000000002228: 961B082A
	s_add_u32 s28, s28, s26                                    // 00000000222C: 801C1A1C
	s_addc_u32 s29, s29, s27                                   // 000000002230: 821D1B1D
	s_mul_i32 s26, s35, s8                                     // 000000002234: 921A0823
	s_sub_i32 s26, s26, s25                                    // 000000002238: 819A191A
	s_mov_b32 s14, s26                                         // 00000000223C: BE8E001A
	s_add_u32 s12, s28, s20                                    // 000000002240: 800C141C
	s_addc_u32 s13, s29, s21                                   // 000000002244: 820D151D
	s_mul_i32 s25, s11, 64                                     // 000000002248: 9219C00B
	s_mul_i32 s25, s2, s25                                     // 00000000224C: 92191902
	s_mul_i32 s26, s3, s9                                      // 000000002250: 921A0903
	s_mul_hi_u32 s28, s3, s9                                   // 000000002254: 961C0903
	s_add_u32 s29, s25, s26                                    // 000000002258: 801D1A19
	s_addc_u32 s28, s28, 0                                     // 00000000225C: 821C801C
	s_mul_i32 s26, s42, s11                                    // 000000002260: 921A0B2A
	s_mul_hi_u32 s27, s42, s11                                 // 000000002264: 961B0B2A
	s_add_u32 s29, s29, s26                                    // 000000002268: 801D1A1D
	s_addc_u32 s28, s28, s27                                   // 00000000226C: 821C1B1C
	s_mul_i32 s26, s35, s11                                    // 000000002270: 921A0B23
	s_sub_i32 s26, s26, s25                                    // 000000002274: 819A191A
	s_mov_b32 s18, s26                                         // 000000002278: BE92001A
	s_add_u32 s16, s29, s22                                    // 00000000227C: 8010161D
	s_addc_u32 s17, s28, s23                                   // 000000002280: 8211171C
	v_readfirstlane_b32 s24, v3                                // 000000002284: 7E300503
	v_lshrrev_b32_e32 v26, 4, v0                               // 000000002288: 20340084
	v_mul_i32_i24_e32 v26, s8, v26                             // 00000000228C: 0C343408
	v_and_b32_e32 v27, 15, v0                                  // 000000002290: 2636008F
	v_mul_i32_i24_e32 v27, 16, v27                             // 000000002294: 0C363690
	v_add_u32_e32 v27, v26, v27                                // 000000002298: 6836371A
	v_mov_b32_e32 v4, v27                                      // 00000000229C: 7E08031B
	s_mul_i32 s25, 16, s8                                      // 0000000022A0: 92190890
	s_mul_i32 s25, s24, s25                                    // 0000000022A4: 92191918
	v_add_u32_e32 v4, s25, v4                                  // 0000000022A8: 68080819
	v_mov_b32_e32 v6, 0                                        // 0000000022AC: 7E0C0280
	v_lshrrev_b32_e32 v26, 5, v0                               // 0000000022B0: 20340085
	v_lshlrev_b32_e32 v26, 1, v26                              // 0000000022B4: 24343481
	v_mul_i32_i24_e32 v26, s11, v26                            // 0000000022B8: 0C34340B
	v_and_b32_e32 v27, 15, v0                                  // 0000000022BC: 2636008F
	v_lshlrev_b32_e32 v27, 3, v27                              // 0000000022C0: 24363683
	v_and_b32_e32 v28, 31, v0                                  // 0000000022C4: 2638009F
	v_lshrrev_b32_e32 v28, 4, v28                              // 0000000022C8: 20383884
	v_lshlrev_b32_e32 v28, 2, v28                              // 0000000022CC: 24383882
	v_add_u32_e32 v6, v26, v6                                  // 0000000022D0: 680C0D1A
	v_add_u32_e32 v6, v27, v6                                  // 0000000022D4: 680C0D1B
	v_add_u32_e32 v6, v28, v6                                  // 0000000022D8: 680C0D1C
	s_mul_i32 s25, 16, s11                                     // 0000000022DC: 92190B90
	s_mul_i32 s25, s24, s25                                    // 0000000022E0: 92191918
	v_add_u32_e32 v6, s25, v6                                  // 0000000022E4: 680C0C19
	v_and_b32_e32 v26, 15, v0                                  // 0000000022E8: 2634008F
	v_lshlrev_b32_e32 v26, 2, v26                              // 0000000022EC: 24343482
	s_sub_i32 s25, s34, 0x80                                   // 0000000022F0: 8199FF22 00000080
	v_cmp_lt_u32_e64 s[30:31], v26, s25                        // 0000000022F8: D0C9001E 0000331A
	v_and_b32_e32 v26, 15, v0                                  // 000000002300: 2634008F
	v_lshrrev_b32_e32 v26, 1, v26                              // 000000002304: 20343481
	v_lshlrev_b32_e32 v26, 3, v26                              // 000000002308: 24343483
	s_sub_i32 s25, s34, 0x80                                   // 00000000230C: 8199FF22 00000080
	v_cmp_lt_u32_e64 s[32:33], v26, s25                        // 000000002314: D0C90020 0000331A
	s_mul_i32 s25, s8, 0                                       // 00000000231C: 92198008
	s_lshl_b32 s25, s25, 2                                     // 000000002320: 8E198219
	v_add_u32_e32 v5, s25, v4                                  // 000000002324: 680A0819
	buffer_load_dwordx4 v[8:11], v5, s[12:15], 0 offen         // 000000002328: E05C1000 80030805
	v_add_u32_e32 v5, 0x100, v5                                // 000000002330: 680A0AFF 00000100
	s_waitcnt vmcnt(0) expcnt(0) lgkmcnt(0)                    // 000000002338: BF8C0000
	s_barrier                                                  // 00000000233C: BF8A0000
	v_cvt_pk_bf16_f32 v20, v8, v9                              // 000000002340: D2680014 00021308
	v_cvt_pk_bf16_f32 v21, v10, v11                            // 000000002348: D2680015 0002170A
	s_nop 1                                                    // 000000002350: BF800001
	v_permlane16_swap_b32_e32 v20, v21                         // 000000002354: 7E28B315
	s_nop 1                                                    // 000000002358: BF800001
	s_mul_i32 s25, s11, 0                                      // 00000000235C: 9219800B
	s_lshl_b32 s25, s25, 2                                     // 000000002360: 8E198219
	s_lshl_b32 s26, 0, 7                                       // 000000002364: 8E1A8780
	v_add_u32_e32 v7, s25, v6                                  // 000000002368: 680E0C19
	v_add_u32_e32 v7, s26, v7                                  // 00000000236C: 680E0E1A
	buffer_store_dword v20, v7, s[16:19], 0 offen              // 000000002370: E0701000 80041407
	v_add_u32_e32 v7, s11, v7                                  // 000000002378: 680E0E0B
	buffer_store_dword v21, v7, s[16:19], 0 offen              // 00000000237C: E0701000 80041507
	buffer_load_dwordx4 v[12:15], v5, s[12:15], 0 offen        // 000000002384: E05C1000 80030C05
	v_add_u32_e32 v5, 0x100, v5                                // 00000000238C: 680A0AFF 00000100
	s_waitcnt vmcnt(0) expcnt(0) lgkmcnt(0)                    // 000000002394: BF8C0000
	s_barrier                                                  // 000000002398: BF8A0000
	v_cvt_pk_bf16_f32 v22, v12, v13                            // 00000000239C: D2680016 00021B0C
	v_cvt_pk_bf16_f32 v23, v14, v15                            // 0000000023A4: D2680017 00021F0E
	s_nop 1                                                    // 0000000023AC: BF800001
	v_permlane16_swap_b32_e32 v22, v23                         // 0000000023B0: 7E2CB317
	s_nop 1                                                    // 0000000023B4: BF800001
	s_mul_i32 s25, s11, 0                                      // 0000000023B8: 9219800B
	s_lshl_b32 s25, s25, 2                                     // 0000000023BC: 8E198219
	s_lshl_b32 s26, 1, 7                                       // 0000000023C0: 8E1A8781
	v_add_u32_e32 v7, s25, v6                                  // 0000000023C4: 680E0C19
	v_add_u32_e32 v7, s26, v7                                  // 0000000023C8: 680E0E1A
	buffer_store_dword v22, v7, s[16:19], 0 offen              // 0000000023CC: E0701000 80041607
	v_add_u32_e32 v7, s11, v7                                  // 0000000023D4: 680E0E0B
	buffer_store_dword v23, v7, s[16:19], 0 offen              // 0000000023D8: E0701000 80041707
	v_mov_b32_e32 v16, 0                                       // 0000000023E0: 7E200280
	v_mov_b32_e32 v17, 0                                       // 0000000023E4: 7E220280
	v_mov_b32_e32 v18, 0                                       // 0000000023E8: 7E240280
	v_mov_b32_e32 v19, 0                                       // 0000000023EC: 7E260280
	s_mov_b64 exec, s[30:31]                                   // 0000000023F0: BEFE011E
	buffer_load_dwordx4 v[16:19], v5, s[12:15], 0 offen        // 0000000023F4: E05C1000 80031005
	s_mov_b64 exec, -1                                         // 0000000023FC: BEFE01C1
	v_add_u32_e32 v5, 0x100, v5                                // 000000002400: 680A0AFF 00000100
	s_waitcnt vmcnt(0) expcnt(0) lgkmcnt(0)                    // 000000002408: BF8C0000
	s_barrier                                                  // 00000000240C: BF8A0000
	v_cvt_pk_bf16_f32 v24, v16, v17                            // 000000002410: D2680018 00022310
	v_cvt_pk_bf16_f32 v25, v18, v19                            // 000000002418: D2680019 00022712
	s_nop 1                                                    // 000000002420: BF800001
	v_permlane16_swap_b32_e32 v24, v25                         // 000000002424: 7E30B319
	s_nop 1                                                    // 000000002428: BF800001
	s_mul_i32 s25, s11, 0                                      // 00000000242C: 9219800B
	s_lshl_b32 s25, s25, 2                                     // 000000002430: 8E198219
	s_lshl_b32 s26, 2, 7                                       // 000000002434: 8E1A8782
	v_add_u32_e32 v7, s25, v6                                  // 000000002438: 680E0C19
	v_add_u32_e32 v7, s26, v7                                  // 00000000243C: 680E0E1A
	s_mov_b64 exec, s[32:33]                                   // 000000002440: BEFE0120
	buffer_store_dword v24, v7, s[16:19], 0 offen              // 000000002444: E0701000 80041807
	v_add_u32_e32 v7, s11, v7                                  // 00000000244C: 680E0E0B
	buffer_store_dword v25, v7, s[16:19], 0 offen              // 000000002450: E0701000 80041907
	s_mov_b64 exec, -1                                         // 000000002458: BEFE01C1
	s_mul_i32 s25, s8, 1                                       // 00000000245C: 92198108
	s_lshl_b32 s25, s25, 2                                     // 000000002460: 8E198219
	v_add_u32_e32 v5, s25, v4                                  // 000000002464: 680A0819
	buffer_load_dwordx4 v[8:11], v5, s[12:15], 0 offen         // 000000002468: E05C1000 80030805
	v_add_u32_e32 v5, 0x100, v5                                // 000000002470: 680A0AFF 00000100
	s_waitcnt vmcnt(0) expcnt(0) lgkmcnt(0)                    // 000000002478: BF8C0000
	s_barrier                                                  // 00000000247C: BF8A0000
	v_cvt_pk_bf16_f32 v20, v8, v9                              // 000000002480: D2680014 00021308
	v_cvt_pk_bf16_f32 v21, v10, v11                            // 000000002488: D2680015 0002170A
	s_nop 1                                                    // 000000002490: BF800001
	v_permlane16_swap_b32_e32 v20, v21                         // 000000002494: 7E28B315
	s_nop 1                                                    // 000000002498: BF800001
	s_mul_i32 s25, s11, 1                                      // 00000000249C: 9219810B
	s_lshl_b32 s25, s25, 2                                     // 0000000024A0: 8E198219
	s_lshl_b32 s26, 0, 7                                       // 0000000024A4: 8E1A8780
	v_add_u32_e32 v7, s25, v6                                  // 0000000024A8: 680E0C19
	v_add_u32_e32 v7, s26, v7                                  // 0000000024AC: 680E0E1A
	buffer_store_dword v20, v7, s[16:19], 0 offen              // 0000000024B0: E0701000 80041407
	v_add_u32_e32 v7, s11, v7                                  // 0000000024B8: 680E0E0B
	buffer_store_dword v21, v7, s[16:19], 0 offen              // 0000000024BC: E0701000 80041507
	buffer_load_dwordx4 v[12:15], v5, s[12:15], 0 offen        // 0000000024C4: E05C1000 80030C05
	v_add_u32_e32 v5, 0x100, v5                                // 0000000024CC: 680A0AFF 00000100
	s_waitcnt vmcnt(0) expcnt(0) lgkmcnt(0)                    // 0000000024D4: BF8C0000
	s_barrier                                                  // 0000000024D8: BF8A0000
	v_cvt_pk_bf16_f32 v22, v12, v13                            // 0000000024DC: D2680016 00021B0C
	v_cvt_pk_bf16_f32 v23, v14, v15                            // 0000000024E4: D2680017 00021F0E
	s_nop 1                                                    // 0000000024EC: BF800001
	v_permlane16_swap_b32_e32 v22, v23                         // 0000000024F0: 7E2CB317
	s_nop 1                                                    // 0000000024F4: BF800001
	s_mul_i32 s25, s11, 1                                      // 0000000024F8: 9219810B
	s_lshl_b32 s25, s25, 2                                     // 0000000024FC: 8E198219
	s_lshl_b32 s26, 1, 7                                       // 000000002500: 8E1A8781
	v_add_u32_e32 v7, s25, v6                                  // 000000002504: 680E0C19
	v_add_u32_e32 v7, s26, v7                                  // 000000002508: 680E0E1A
	buffer_store_dword v22, v7, s[16:19], 0 offen              // 00000000250C: E0701000 80041607
	v_add_u32_e32 v7, s11, v7                                  // 000000002514: 680E0E0B
	buffer_store_dword v23, v7, s[16:19], 0 offen              // 000000002518: E0701000 80041707
	v_mov_b32_e32 v16, 0                                       // 000000002520: 7E200280
	v_mov_b32_e32 v17, 0                                       // 000000002524: 7E220280
	v_mov_b32_e32 v18, 0                                       // 000000002528: 7E240280
	v_mov_b32_e32 v19, 0                                       // 00000000252C: 7E260280
	s_mov_b64 exec, s[30:31]                                   // 000000002530: BEFE011E
	buffer_load_dwordx4 v[16:19], v5, s[12:15], 0 offen        // 000000002534: E05C1000 80031005
	s_mov_b64 exec, -1                                         // 00000000253C: BEFE01C1
	v_add_u32_e32 v5, 0x100, v5                                // 000000002540: 680A0AFF 00000100
	s_waitcnt vmcnt(0) expcnt(0) lgkmcnt(0)                    // 000000002548: BF8C0000
	s_barrier                                                  // 00000000254C: BF8A0000
	v_cvt_pk_bf16_f32 v24, v16, v17                            // 000000002550: D2680018 00022310
	v_cvt_pk_bf16_f32 v25, v18, v19                            // 000000002558: D2680019 00022712
	s_nop 1                                                    // 000000002560: BF800001
	v_permlane16_swap_b32_e32 v24, v25                         // 000000002564: 7E30B319
	s_nop 1                                                    // 000000002568: BF800001
	s_mul_i32 s25, s11, 1                                      // 00000000256C: 9219810B
	s_lshl_b32 s25, s25, 2                                     // 000000002570: 8E198219
	s_lshl_b32 s26, 2, 7                                       // 000000002574: 8E1A8782
	v_add_u32_e32 v7, s25, v6                                  // 000000002578: 680E0C19
	v_add_u32_e32 v7, s26, v7                                  // 00000000257C: 680E0E1A
	s_mov_b64 exec, s[32:33]                                   // 000000002580: BEFE0120
	buffer_store_dword v24, v7, s[16:19], 0 offen              // 000000002584: E0701000 80041807
	v_add_u32_e32 v7, s11, v7                                  // 00000000258C: 680E0E0B
	buffer_store_dword v25, v7, s[16:19], 0 offen              // 000000002590: E0701000 80041907
	s_mov_b64 exec, -1                                         // 000000002598: BEFE01C1
	s_mul_i32 s25, s8, 2                                       // 00000000259C: 92198208
	s_lshl_b32 s25, s25, 2                                     // 0000000025A0: 8E198219
	v_add_u32_e32 v5, s25, v4                                  // 0000000025A4: 680A0819
	buffer_load_dwordx4 v[8:11], v5, s[12:15], 0 offen         // 0000000025A8: E05C1000 80030805
	v_add_u32_e32 v5, 0x100, v5                                // 0000000025B0: 680A0AFF 00000100
	s_waitcnt vmcnt(0) expcnt(0) lgkmcnt(0)                    // 0000000025B8: BF8C0000
	s_barrier                                                  // 0000000025BC: BF8A0000
	v_cvt_pk_bf16_f32 v20, v8, v9                              // 0000000025C0: D2680014 00021308
	v_cvt_pk_bf16_f32 v21, v10, v11                            // 0000000025C8: D2680015 0002170A
	s_nop 1                                                    // 0000000025D0: BF800001
	v_permlane16_swap_b32_e32 v20, v21                         // 0000000025D4: 7E28B315
	s_nop 1                                                    // 0000000025D8: BF800001
	s_mul_i32 s25, s11, 2                                      // 0000000025DC: 9219820B
	s_lshl_b32 s25, s25, 2                                     // 0000000025E0: 8E198219
	s_lshl_b32 s26, 0, 7                                       // 0000000025E4: 8E1A8780
	v_add_u32_e32 v7, s25, v6                                  // 0000000025E8: 680E0C19
	v_add_u32_e32 v7, s26, v7                                  // 0000000025EC: 680E0E1A
	buffer_store_dword v20, v7, s[16:19], 0 offen              // 0000000025F0: E0701000 80041407
	v_add_u32_e32 v7, s11, v7                                  // 0000000025F8: 680E0E0B
	buffer_store_dword v21, v7, s[16:19], 0 offen              // 0000000025FC: E0701000 80041507
	buffer_load_dwordx4 v[12:15], v5, s[12:15], 0 offen        // 000000002604: E05C1000 80030C05
	v_add_u32_e32 v5, 0x100, v5                                // 00000000260C: 680A0AFF 00000100
	s_waitcnt vmcnt(0) expcnt(0) lgkmcnt(0)                    // 000000002614: BF8C0000
	s_barrier                                                  // 000000002618: BF8A0000
	v_cvt_pk_bf16_f32 v22, v12, v13                            // 00000000261C: D2680016 00021B0C
	v_cvt_pk_bf16_f32 v23, v14, v15                            // 000000002624: D2680017 00021F0E
	s_nop 1                                                    // 00000000262C: BF800001
	v_permlane16_swap_b32_e32 v22, v23                         // 000000002630: 7E2CB317
	s_nop 1                                                    // 000000002634: BF800001
	s_mul_i32 s25, s11, 2                                      // 000000002638: 9219820B
	s_lshl_b32 s25, s25, 2                                     // 00000000263C: 8E198219
	s_lshl_b32 s26, 1, 7                                       // 000000002640: 8E1A8781
	v_add_u32_e32 v7, s25, v6                                  // 000000002644: 680E0C19
	v_add_u32_e32 v7, s26, v7                                  // 000000002648: 680E0E1A
	buffer_store_dword v22, v7, s[16:19], 0 offen              // 00000000264C: E0701000 80041607
	v_add_u32_e32 v7, s11, v7                                  // 000000002654: 680E0E0B
	buffer_store_dword v23, v7, s[16:19], 0 offen              // 000000002658: E0701000 80041707
	v_mov_b32_e32 v16, 0                                       // 000000002660: 7E200280
	v_mov_b32_e32 v17, 0                                       // 000000002664: 7E220280
	v_mov_b32_e32 v18, 0                                       // 000000002668: 7E240280
	v_mov_b32_e32 v19, 0                                       // 00000000266C: 7E260280
	s_mov_b64 exec, s[30:31]                                   // 000000002670: BEFE011E
	buffer_load_dwordx4 v[16:19], v5, s[12:15], 0 offen        // 000000002674: E05C1000 80031005
	s_mov_b64 exec, -1                                         // 00000000267C: BEFE01C1
	v_add_u32_e32 v5, 0x100, v5                                // 000000002680: 680A0AFF 00000100
	s_waitcnt vmcnt(0) expcnt(0) lgkmcnt(0)                    // 000000002688: BF8C0000
	s_barrier                                                  // 00000000268C: BF8A0000
	v_cvt_pk_bf16_f32 v24, v16, v17                            // 000000002690: D2680018 00022310
	v_cvt_pk_bf16_f32 v25, v18, v19                            // 000000002698: D2680019 00022712
	s_nop 1                                                    // 0000000026A0: BF800001
	v_permlane16_swap_b32_e32 v24, v25                         // 0000000026A4: 7E30B319
	s_nop 1                                                    // 0000000026A8: BF800001
	s_mul_i32 s25, s11, 2                                      // 0000000026AC: 9219820B
	s_lshl_b32 s25, s25, 2                                     // 0000000026B0: 8E198219
	s_lshl_b32 s26, 2, 7                                       // 0000000026B4: 8E1A8782
	v_add_u32_e32 v7, s25, v6                                  // 0000000026B8: 680E0C19
	v_add_u32_e32 v7, s26, v7                                  // 0000000026BC: 680E0E1A
	s_mov_b64 exec, s[32:33]                                   // 0000000026C0: BEFE0120
	buffer_store_dword v24, v7, s[16:19], 0 offen              // 0000000026C4: E0701000 80041807
	v_add_u32_e32 v7, s11, v7                                  // 0000000026CC: 680E0E0B
	buffer_store_dword v25, v7, s[16:19], 0 offen              // 0000000026D0: E0701000 80041907
	s_mov_b64 exec, -1                                         // 0000000026D8: BEFE01C1
	s_mul_i32 s25, s8, 3                                       // 0000000026DC: 92198308
	s_lshl_b32 s25, s25, 2                                     // 0000000026E0: 8E198219
	v_add_u32_e32 v5, s25, v4                                  // 0000000026E4: 680A0819
	buffer_load_dwordx4 v[8:11], v5, s[12:15], 0 offen         // 0000000026E8: E05C1000 80030805
	v_add_u32_e32 v5, 0x100, v5                                // 0000000026F0: 680A0AFF 00000100
	s_waitcnt vmcnt(0) expcnt(0) lgkmcnt(0)                    // 0000000026F8: BF8C0000
	s_barrier                                                  // 0000000026FC: BF8A0000
	v_cvt_pk_bf16_f32 v20, v8, v9                              // 000000002700: D2680014 00021308
	v_cvt_pk_bf16_f32 v21, v10, v11                            // 000000002708: D2680015 0002170A
	s_nop 1                                                    // 000000002710: BF800001
	v_permlane16_swap_b32_e32 v20, v21                         // 000000002714: 7E28B315
	s_nop 1                                                    // 000000002718: BF800001
	s_mul_i32 s25, s11, 3                                      // 00000000271C: 9219830B
	s_lshl_b32 s25, s25, 2                                     // 000000002720: 8E198219
	s_lshl_b32 s26, 0, 7                                       // 000000002724: 8E1A8780
	v_add_u32_e32 v7, s25, v6                                  // 000000002728: 680E0C19
	v_add_u32_e32 v7, s26, v7                                  // 00000000272C: 680E0E1A
	buffer_store_dword v20, v7, s[16:19], 0 offen              // 000000002730: E0701000 80041407
	v_add_u32_e32 v7, s11, v7                                  // 000000002738: 680E0E0B
	buffer_store_dword v21, v7, s[16:19], 0 offen              // 00000000273C: E0701000 80041507
	buffer_load_dwordx4 v[12:15], v5, s[12:15], 0 offen        // 000000002744: E05C1000 80030C05
	v_add_u32_e32 v5, 0x100, v5                                // 00000000274C: 680A0AFF 00000100
	s_waitcnt vmcnt(0) expcnt(0) lgkmcnt(0)                    // 000000002754: BF8C0000
	s_barrier                                                  // 000000002758: BF8A0000
	v_cvt_pk_bf16_f32 v22, v12, v13                            // 00000000275C: D2680016 00021B0C
	v_cvt_pk_bf16_f32 v23, v14, v15                            // 000000002764: D2680017 00021F0E
	s_nop 1                                                    // 00000000276C: BF800001
	v_permlane16_swap_b32_e32 v22, v23                         // 000000002770: 7E2CB317
	s_nop 1                                                    // 000000002774: BF800001
	s_mul_i32 s25, s11, 3                                      // 000000002778: 9219830B
	s_lshl_b32 s25, s25, 2                                     // 00000000277C: 8E198219
	s_lshl_b32 s26, 1, 7                                       // 000000002780: 8E1A8781
	v_add_u32_e32 v7, s25, v6                                  // 000000002784: 680E0C19
	v_add_u32_e32 v7, s26, v7                                  // 000000002788: 680E0E1A
	buffer_store_dword v22, v7, s[16:19], 0 offen              // 00000000278C: E0701000 80041607
	v_add_u32_e32 v7, s11, v7                                  // 000000002794: 680E0E0B
	buffer_store_dword v23, v7, s[16:19], 0 offen              // 000000002798: E0701000 80041707
	v_mov_b32_e32 v16, 0                                       // 0000000027A0: 7E200280
	v_mov_b32_e32 v17, 0                                       // 0000000027A4: 7E220280
	v_mov_b32_e32 v18, 0                                       // 0000000027A8: 7E240280
	v_mov_b32_e32 v19, 0                                       // 0000000027AC: 7E260280
	s_mov_b64 exec, s[30:31]                                   // 0000000027B0: BEFE011E
	buffer_load_dwordx4 v[16:19], v5, s[12:15], 0 offen        // 0000000027B4: E05C1000 80031005
	s_mov_b64 exec, -1                                         // 0000000027BC: BEFE01C1
	v_add_u32_e32 v5, 0x100, v5                                // 0000000027C0: 680A0AFF 00000100
	s_waitcnt vmcnt(0) expcnt(0) lgkmcnt(0)                    // 0000000027C8: BF8C0000
	s_barrier                                                  // 0000000027CC: BF8A0000
	v_cvt_pk_bf16_f32 v24, v16, v17                            // 0000000027D0: D2680018 00022310
	v_cvt_pk_bf16_f32 v25, v18, v19                            // 0000000027D8: D2680019 00022712
	s_nop 1                                                    // 0000000027E0: BF800001
	v_permlane16_swap_b32_e32 v24, v25                         // 0000000027E4: 7E30B319
	s_nop 1                                                    // 0000000027E8: BF800001
	s_mul_i32 s25, s11, 3                                      // 0000000027EC: 9219830B
	s_lshl_b32 s25, s25, 2                                     // 0000000027F0: 8E198219
	s_lshl_b32 s26, 2, 7                                       // 0000000027F4: 8E1A8782
	v_add_u32_e32 v7, s25, v6                                  // 0000000027F8: 680E0C19
	v_add_u32_e32 v7, s26, v7                                  // 0000000027FC: 680E0E1A
	s_mov_b64 exec, s[32:33]                                   // 000000002800: BEFE0120
	buffer_store_dword v24, v7, s[16:19], 0 offen              // 000000002804: E0701000 80041807
	v_add_u32_e32 v7, s11, v7                                  // 00000000280C: 680E0E0B
	buffer_store_dword v25, v7, s[16:19], 0 offen              // 000000002810: E0701000 80041907
	s_mov_b64 exec, -1                                         // 000000002818: BEFE01C1

000000000000281c <label_01C7>:
	s_waitcnt vmcnt(0) expcnt(0) lgkmcnt(0)                    // 00000000281C: BF8C0000
	s_endpgm                                                   // 000000002820: BF810000
